;; amdgpu-corpus repo=ROCm/rocFFT kind=compiled arch=gfx1201 opt=O3
	.text
	.amdgcn_target "amdgcn-amd-amdhsa--gfx1201"
	.amdhsa_code_object_version 6
	.protected	bluestein_single_back_len441_dim1_sp_op_CI_CI ; -- Begin function bluestein_single_back_len441_dim1_sp_op_CI_CI
	.globl	bluestein_single_back_len441_dim1_sp_op_CI_CI
	.p2align	8
	.type	bluestein_single_back_len441_dim1_sp_op_CI_CI,@function
bluestein_single_back_len441_dim1_sp_op_CI_CI: ; @bluestein_single_back_len441_dim1_sp_op_CI_CI
; %bb.0:
	s_load_b128 s[4:7], s[0:1], 0x28
	v_mul_u32_u24_e32 v1, 0x411, v0
	s_mov_b32 s2, exec_lo
	v_mov_b32_e32 v41, 0
	s_delay_alu instid0(VALU_DEP_2) | instskip(NEXT) | instid1(VALU_DEP_1)
	v_lshrrev_b32_e32 v1, 16, v1
	v_add_nc_u32_e32 v40, ttmp9, v1
	s_wait_kmcnt 0x0
	s_delay_alu instid0(VALU_DEP_1)
	v_cmpx_gt_u64_e64 s[4:5], v[40:41]
	s_cbranch_execz .LBB0_15
; %bb.1:
	s_clause 0x1
	s_load_b64 s[8:9], s[0:1], 0x0
	s_load_b64 s[4:5], s[0:1], 0x38
	v_mul_lo_u16 v1, v1, 63
	s_delay_alu instid0(VALU_DEP_1) | instskip(NEXT) | instid1(VALU_DEP_1)
	v_sub_nc_u16 v0, v0, v1
	v_and_b32_e32 v43, 0xffff, v0
	v_cmp_gt_u16_e32 vcc_lo, 49, v0
	s_delay_alu instid0(VALU_DEP_2)
	v_lshlrev_b32_e32 v44, 3, v43
	s_and_saveexec_b32 s3, vcc_lo
	s_cbranch_execz .LBB0_3
; %bb.2:
	s_load_b64 s[10:11], s[0:1], 0x18
	s_delay_alu instid0(VALU_DEP_1)
	v_add_nc_u32_e32 v38, 0x800, v44
	s_wait_kmcnt 0x0
	s_load_b128 s[12:15], s[10:11], 0x0
	s_wait_kmcnt 0x0
	v_mad_co_u64_u32 v[0:1], null, s14, v40, 0
	v_mad_co_u64_u32 v[2:3], null, s12, v43, 0
	s_delay_alu instid0(VALU_DEP_1) | instskip(NEXT) | instid1(VALU_DEP_1)
	v_mad_co_u64_u32 v[4:5], null, s15, v40, v[1:2]
	v_mad_co_u64_u32 v[5:6], null, s13, v43, v[3:4]
	v_mov_b32_e32 v1, v4
	s_delay_alu instid0(VALU_DEP_1) | instskip(NEXT) | instid1(VALU_DEP_3)
	v_lshlrev_b64_e32 v[0:1], 3, v[0:1]
	v_mov_b32_e32 v3, v5
	s_clause 0x6
	global_load_b64 v[4:5], v44, s[8:9]
	global_load_b64 v[6:7], v44, s[8:9] offset:392
	global_load_b64 v[8:9], v44, s[8:9] offset:784
	;; [unrolled: 1-line block ×6, first 2 shown]
	v_lshlrev_b64_e32 v[2:3], 3, v[2:3]
	v_add_co_u32 v0, s2, s6, v0
	s_delay_alu instid0(VALU_DEP_1) | instskip(SKIP_1) | instid1(VALU_DEP_2)
	v_add_co_ci_u32_e64 v1, s2, s7, v1, s2
	s_mul_u64 s[6:7], s[12:13], 0x188
	v_add_co_u32 v0, s2, v0, v2
	s_wait_alu 0xf1ff
	s_delay_alu instid0(VALU_DEP_2) | instskip(SKIP_1) | instid1(VALU_DEP_2)
	v_add_co_ci_u32_e64 v1, s2, v1, v3, s2
	s_wait_alu 0xfffe
	v_add_co_u32 v2, s2, v0, s6
	s_wait_alu 0xf1ff
	s_delay_alu instid0(VALU_DEP_2) | instskip(NEXT) | instid1(VALU_DEP_2)
	v_add_co_ci_u32_e64 v3, s2, s7, v1, s2
	v_add_co_u32 v12, s2, v2, s6
	s_wait_alu 0xf1ff
	s_delay_alu instid0(VALU_DEP_2)
	v_add_co_ci_u32_e64 v13, s2, s7, v3, s2
	s_clause 0x1
	global_load_b64 v[0:1], v[0:1], off
	global_load_b64 v[2:3], v[2:3], off
	v_add_co_u32 v20, s2, v12, s6
	s_wait_alu 0xf1ff
	v_add_co_ci_u32_e64 v21, s2, s7, v13, s2
	s_delay_alu instid0(VALU_DEP_2) | instskip(SKIP_1) | instid1(VALU_DEP_2)
	v_add_co_u32 v22, s2, v20, s6
	s_wait_alu 0xf1ff
	v_add_co_ci_u32_e64 v23, s2, s7, v21, s2
	s_clause 0x1
	global_load_b64 v[12:13], v[12:13], off
	global_load_b64 v[20:21], v[20:21], off
	v_add_co_u32 v24, s2, v22, s6
	s_wait_alu 0xf1ff
	v_add_co_ci_u32_e64 v25, s2, s7, v23, s2
	global_load_b64 v[22:23], v[22:23], off
	v_add_co_u32 v26, s2, v24, s6
	s_wait_alu 0xf1ff
	v_add_co_ci_u32_e64 v27, s2, s7, v25, s2
	;; [unrolled: 4-line block ×4, first 2 shown]
	global_load_b64 v[32:33], v44, s[8:9] offset:2744
	global_load_b64 v[28:29], v[28:29], off
	global_load_b64 v[34:35], v44, s[8:9] offset:3136
	global_load_b64 v[30:31], v[30:31], off
	s_wait_loadcnt 0xa
	v_mul_f32_e32 v37, v0, v5
	s_wait_loadcnt 0x9
	v_dual_mul_f32 v36, v1, v5 :: v_dual_mul_f32 v5, v3, v7
	s_delay_alu instid0(VALU_DEP_2) | instskip(NEXT) | instid1(VALU_DEP_2)
	v_fma_f32 v37, v1, v4, -v37
	v_dual_mul_f32 v1, v2, v7 :: v_dual_fmac_f32 v36, v0, v4
	s_wait_loadcnt 0x8
	s_delay_alu instid0(VALU_DEP_3)
	v_dual_fmac_f32 v5, v2, v6 :: v_dual_mul_f32 v4, v12, v9
	v_mul_f32_e32 v0, v13, v9
	s_wait_loadcnt 0x7
	v_mul_f32_e32 v2, v21, v11
	v_fma_f32 v6, v3, v6, -v1
	v_mul_f32_e32 v3, v20, v11
	v_fma_f32 v1, v13, v8, -v4
	s_wait_loadcnt 0x6
	v_dual_fmac_f32 v0, v12, v8 :: v_dual_mul_f32 v7, v23, v15
	v_fmac_f32_e32 v2, v20, v10
	v_fma_f32 v3, v21, v10, -v3
	s_wait_loadcnt 0x5
	v_dual_mul_f32 v9, v25, v17 :: v_dual_mul_f32 v4, v22, v15
	v_dual_mul_f32 v10, v24, v17 :: v_dual_fmac_f32 v7, v22, v14
	s_wait_loadcnt 0x4
	v_mul_f32_e32 v11, v27, v19
	s_delay_alu instid0(VALU_DEP_3)
	v_fmac_f32_e32 v9, v24, v16
	v_fma_f32 v8, v23, v14, -v4
	s_wait_loadcnt 0x2
	v_mul_f32_e32 v14, v28, v33
	v_dual_mul_f32 v4, v26, v19 :: v_dual_mul_f32 v13, v29, v33
	v_fma_f32 v10, v25, v16, -v10
	s_wait_loadcnt 0x0
	v_mul_f32_e32 v15, v31, v35
	v_mul_f32_e32 v16, v30, v35
	v_fmac_f32_e32 v11, v26, v18
	v_fmac_f32_e32 v13, v28, v32
	v_fma_f32 v12, v27, v18, -v4
	v_fma_f32 v14, v29, v32, -v14
	v_fmac_f32_e32 v15, v30, v34
	v_fma_f32 v16, v31, v34, -v16
	ds_store_2addr_b64 v44, v[36:37], v[5:6] offset1:49
	ds_store_2addr_b64 v44, v[0:1], v[2:3] offset0:98 offset1:147
	ds_store_2addr_b64 v44, v[7:8], v[9:10] offset0:196 offset1:245
	;; [unrolled: 1-line block ×3, first 2 shown]
	ds_store_b64 v44, v[15:16] offset:3136
.LBB0_3:
	s_or_b32 exec_lo, exec_lo, s3
	s_clause 0x1
	s_load_b64 s[2:3], s[0:1], 0x20
	s_load_b64 s[6:7], s[0:1], 0x8
	v_mov_b32_e32 v2, 0
	v_mov_b32_e32 v3, 0
	global_wb scope:SCOPE_SE
	s_wait_dscnt 0x0
	s_wait_kmcnt 0x0
	s_barrier_signal -1
	s_barrier_wait -1
	global_inv scope:SCOPE_SE
	v_dual_mov_b32 v9, v3 :: v_dual_mov_b32 v8, v2
	v_dual_mov_b32 v11, v3 :: v_dual_mov_b32 v10, v2
	;; [unrolled: 1-line block ×3, first 2 shown]
                                        ; implicit-def: $vgpr12
                                        ; implicit-def: $vgpr16
	s_and_saveexec_b32 s0, vcc_lo
	s_cbranch_execz .LBB0_5
; %bb.4:
	v_add_nc_u32_e32 v12, 0x800, v44
	ds_load_2addr_b64 v[0:3], v44 offset1:49
	ds_load_2addr_b64 v[8:11], v44 offset0:98 offset1:147
	ds_load_2addr_b64 v[4:7], v44 offset0:196 offset1:245
	;; [unrolled: 1-line block ×3, first 2 shown]
	ds_load_b64 v[16:17], v44 offset:3136
.LBB0_5:
	s_wait_alu 0xfffe
	s_or_b32 exec_lo, exec_lo, s0
	s_wait_dscnt 0x1
	v_dual_sub_f32 v19, v8, v14 :: v_dual_sub_f32 v18, v9, v15
	s_wait_dscnt 0x0
	v_dual_add_f32 v21, v16, v2 :: v_dual_sub_f32 v20, v2, v16
	v_sub_f32_e32 v16, v3, v17
	s_delay_alu instid0(VALU_DEP_3) | instskip(SKIP_2) | instid1(VALU_DEP_3)
	v_dual_mul_f32 v28, 0x3f7c1c5c, v19 :: v_dual_sub_f32 v27, v10, v12
	v_dual_mul_f32 v29, 0x3f7c1c5c, v18 :: v_dual_add_f32 v22, v17, v3
	v_dual_sub_f32 v26, v11, v13 :: v_dual_add_f32 v23, v14, v8
	v_dual_fmac_f32 v28, 0x3f248dbb, v20 :: v_dual_add_f32 v25, v15, v9
	s_delay_alu instid0(VALU_DEP_3) | instskip(NEXT) | instid1(VALU_DEP_4)
	v_dual_fmac_f32 v29, 0x3f248dbb, v16 :: v_dual_add_f32 v10, v12, v10
	v_fmamk_f32 v3, v22, 0x3f441b7d, v1
	s_delay_alu instid0(VALU_DEP_3) | instskip(SKIP_1) | instid1(VALU_DEP_4)
	v_dual_fmac_f32 v28, 0x3f5db3d7, v27 :: v_dual_sub_f32 v17, v4, v6
	v_fmamk_f32 v2, v21, 0x3f441b7d, v0
	v_dual_fmac_f32 v29, 0x3f5db3d7, v26 :: v_dual_sub_f32 v12, v5, v7
	s_delay_alu instid0(VALU_DEP_4) | instskip(NEXT) | instid1(VALU_DEP_4)
	v_fmac_f32_e32 v3, 0x3e31d0d4, v25
	v_dual_add_f32 v11, v13, v11 :: v_dual_fmac_f32 v28, 0x3eaf1d44, v17
	s_delay_alu instid0(VALU_DEP_4) | instskip(NEXT) | instid1(VALU_DEP_4)
	v_dual_fmac_f32 v2, 0x3e31d0d4, v23 :: v_dual_add_f32 v13, v6, v4
	v_dual_fmac_f32 v29, 0x3eaf1d44, v12 :: v_dual_add_f32 v24, v7, v5
	s_delay_alu instid0(VALU_DEP_3) | instskip(NEXT) | instid1(VALU_DEP_3)
	v_dual_mul_f32 v8, 0x3f248dbb, v17 :: v_dual_fmac_f32 v3, -0.5, v11
	v_dual_fmac_f32 v2, -0.5, v10 :: v_dual_mul_f32 v9, 0x3f248dbb, v12
	s_delay_alu instid0(VALU_DEP_3) | instskip(NEXT) | instid1(VALU_DEP_3)
	v_dual_fmamk_f32 v14, v13, 0x3f441b7d, v0 :: v_dual_fmamk_f32 v15, v24, 0x3f441b7d, v1
	v_fma_f32 v30, 0x3f7c1c5c, v20, -v8
	s_delay_alu instid0(VALU_DEP_4) | instskip(NEXT) | instid1(VALU_DEP_4)
	v_fmac_f32_e32 v3, 0xbf708fb2, v24
	v_fma_f32 v31, 0x3f7c1c5c, v16, -v9
	s_delay_alu instid0(VALU_DEP_4) | instskip(SKIP_1) | instid1(VALU_DEP_3)
	v_dual_fmac_f32 v14, 0x3e31d0d4, v21 :: v_dual_fmac_f32 v15, 0x3e31d0d4, v22
	v_fmac_f32_e32 v2, 0xbf708fb2, v13
	v_dual_fmac_f32 v30, 0xbf5db3d7, v27 :: v_dual_fmac_f32 v31, 0xbf5db3d7, v26
	s_delay_alu instid0(VALU_DEP_3) | instskip(NEXT) | instid1(VALU_DEP_3)
	v_dual_fmac_f32 v14, -0.5, v10 :: v_dual_fmac_f32 v15, -0.5, v11
	v_dual_add_f32 v8, v2, v29 :: v_dual_sub_f32 v9, v3, v28
	s_delay_alu instid0(VALU_DEP_3) | instskip(NEXT) | instid1(VALU_DEP_3)
	v_dual_fmac_f32 v30, 0x3eaf1d44, v19 :: v_dual_fmac_f32 v31, 0x3eaf1d44, v18
	v_dual_fmac_f32 v14, 0xbf708fb2, v23 :: v_dual_fmac_f32 v15, 0xbf708fb2, v25
	s_delay_alu instid0(VALU_DEP_3) | instskip(NEXT) | instid1(VALU_DEP_4)
	v_fma_f32 v41, -2.0, v29, v8
	v_fma_f32 v42, 2.0, v28, v9
	v_mul_lo_u16 v45, v43, 9
	s_delay_alu instid0(VALU_DEP_4)
	v_add_f32_e32 v2, v31, v14
	v_sub_f32_e32 v3, v15, v30
	global_wb scope:SCOPE_SE
	s_barrier_signal -1
	s_barrier_wait -1
	v_fma_f32 v14, -2.0, v31, v2
	v_fma_f32 v15, 2.0, v30, v3
	global_inv scope:SCOPE_SE
	s_and_saveexec_b32 s0, vcc_lo
	s_cbranch_execz .LBB0_7
; %bb.6:
	v_dual_mul_f32 v28, 0x3f7c1c5c, v17 :: v_dual_mul_f32 v31, 0.5, v11
	v_dual_mul_f32 v27, 0x3f5db3d7, v27 :: v_dual_mul_f32 v26, 0x3f5db3d7, v26
	v_dual_fmamk_f32 v29, v25, 0x3f441b7d, v1 :: v_dual_mul_f32 v30, 0.5, v10
	s_delay_alu instid0(VALU_DEP_3) | instskip(SKIP_3) | instid1(VALU_DEP_4)
	v_fma_f32 v28, 0xbf248dbb, v19, -v28
	v_dual_mul_f32 v32, 0x3f7c1c5c, v12 :: v_dual_add_f32 v25, v22, v25
	v_add_f32_e32 v17, v20, v17
	v_add_f32_e32 v12, v16, v12
	;; [unrolled: 1-line block ×3, first 2 shown]
	s_delay_alu instid0(VALU_DEP_1) | instskip(SKIP_3) | instid1(VALU_DEP_3)
	v_fmac_f32_e32 v27, 0x3eaf1d44, v20
	v_fmac_f32_e32 v29, 0x3e31d0d4, v24
	v_fmamk_f32 v33, v23, 0x3f441b7d, v0
	v_add_f32_e32 v23, v21, v23
	v_sub_f32_e32 v28, v29, v31
	v_fma_f32 v29, 0xbf248dbb, v18, -v32
	v_add_f32_e32 v31, v25, v11
	v_fmac_f32_e32 v33, 0x3e31d0d4, v13
	s_delay_alu instid0(VALU_DEP_4) | instskip(NEXT) | instid1(VALU_DEP_4)
	v_dual_add_f32 v11, v1, v11 :: v_dual_fmac_f32 v28, 0xbf708fb2, v22
	v_add_f32_e32 v26, v26, v29
	s_delay_alu instid0(VALU_DEP_2) | instskip(SKIP_2) | instid1(VALU_DEP_4)
	v_sub_f32_e32 v22, v28, v27
	v_add_f32_e32 v28, v23, v10
	v_add_f32_e32 v5, v31, v5
	v_dual_sub_f32 v29, v33, v30 :: v_dual_fmac_f32 v26, 0x3eaf1d44, v16
	v_add_f32_e32 v10, v0, v10
	s_delay_alu instid0(VALU_DEP_3) | instskip(NEXT) | instid1(VALU_DEP_3)
	v_dual_add_f32 v4, v28, v4 :: v_dual_add_f32 v7, v7, v5
	v_dual_fmac_f32 v29, 0xbf708fb2, v21 :: v_dual_sub_f32 v16, v17, v19
	v_fma_f32 v5, 2.0, v27, v22
	s_delay_alu instid0(VALU_DEP_3) | instskip(SKIP_1) | instid1(VALU_DEP_2)
	v_dual_add_f32 v4, v6, v4 :: v_dual_add_f32 v7, v1, v7
	v_add_f32_e32 v1, v25, v24
	v_dual_add_f32 v13, v23, v13 :: v_dual_add_f32 v6, v0, v4
	v_add_f32_e32 v21, v29, v26
	s_delay_alu instid0(VALU_DEP_3) | instskip(NEXT) | instid1(VALU_DEP_3)
	v_fmac_f32_e32 v11, -0.5, v1
	v_dual_fmac_f32 v10, -0.5, v13 :: v_dual_sub_f32 v1, v12, v18
	v_and_b32_e32 v13, 0xffff, v45
	v_mul_f32_e32 v12, 0x3f5db3d7, v16
	s_delay_alu instid0(VALU_DEP_4)
	v_fmac_f32_e32 v11, 0xbf5db3d7, v16
	v_fma_f32 v4, -2.0, v26, v21
	v_mul_f32_e32 v16, 0x3f5db3d7, v1
	v_fmac_f32_e32 v10, 0x3f5db3d7, v1
	v_lshlrev_b32_e32 v13, 3, v13
	v_fma_f32 v1, 2.0, v12, v11
	s_delay_alu instid0(VALU_DEP_3)
	v_fma_f32 v0, -2.0, v16, v10
	ds_store_2addr_b64 v13, v[6:7], v[8:9] offset1:1
	ds_store_2addr_b64 v13, v[2:3], v[10:11] offset0:2 offset1:3
	ds_store_2addr_b64 v13, v[21:22], v[4:5] offset0:4 offset1:5
	;; [unrolled: 1-line block ×3, first 2 shown]
	ds_store_b64 v13, v[41:42] offset:64
.LBB0_7:
	s_wait_alu 0xfffe
	s_or_b32 exec_lo, exec_lo, s0
	v_and_b32_e32 v0, 0xff, v43
	s_load_b128 s[0:3], s[2:3], 0x0
	global_wb scope:SCOPE_SE
	s_wait_dscnt 0x0
	s_wait_kmcnt 0x0
	s_barrier_signal -1
	s_barrier_wait -1
	v_mul_lo_u16 v0, v0, 57
	global_inv scope:SCOPE_SE
	v_lshrrev_b16 v12, 9, v0
	s_delay_alu instid0(VALU_DEP_1) | instskip(NEXT) | instid1(VALU_DEP_1)
	v_mul_lo_u16 v0, v12, 9
	v_sub_nc_u16 v0, v43, v0
	s_delay_alu instid0(VALU_DEP_1) | instskip(NEXT) | instid1(VALU_DEP_1)
	v_and_b32_e32 v30, 0xff, v0
	v_mul_u32_u24_e32 v0, 6, v30
	s_delay_alu instid0(VALU_DEP_1)
	v_lshlrev_b32_e32 v0, 3, v0
	s_clause 0x2
	global_load_b128 v[8:11], v0, s[6:7]
	global_load_b128 v[4:7], v0, s[6:7] offset:16
	global_load_b128 v[0:3], v0, s[6:7] offset:32
	ds_load_2addr_b64 v[16:19], v44 offset1:63
	v_add_nc_u32_e32 v47, 0x400, v44
	ds_load_2addr_b64 v[20:23], v44 offset0:126 offset1:189
	ds_load_2addr_b64 v[24:27], v47 offset0:124 offset1:187
	v_and_b32_e32 v28, 0xffff, v12
	ds_load_b64 v[12:13], v44 offset:3024
	global_wb scope:SCOPE_SE
	s_wait_loadcnt_dscnt 0x0
	s_barrier_signal -1
	s_barrier_wait -1
	global_inv scope:SCOPE_SE
	v_mul_f32_e32 v32, v21, v11
	v_mul_f32_e32 v37, v24, v7
	;; [unrolled: 1-line block ×3, first 2 shown]
	v_mul_u32_u24_e32 v31, 63, v28
	v_dual_mul_f32 v33, v20, v11 :: v_dual_mul_f32 v34, v23, v5
	v_mul_f32_e32 v49, v12, v3
	v_mul_f32_e32 v35, v22, v5
	s_delay_alu instid0(VALU_DEP_4) | instskip(SKIP_4) | instid1(VALU_DEP_4)
	v_add_lshl_u32 v46, v31, v30, 3
	v_mul_f32_e32 v30, v19, v9
	v_dual_mul_f32 v31, v18, v9 :: v_dual_mul_f32 v36, v25, v7
	v_dual_mul_f32 v38, v27, v1 :: v_dual_fmac_f32 v33, v21, v10
	v_dual_mul_f32 v48, v13, v3 :: v_dual_fmac_f32 v35, v23, v4
	v_fma_f32 v18, v18, v8, -v30
	s_delay_alu instid0(VALU_DEP_4)
	v_fmac_f32_e32 v31, v19, v8
	v_fma_f32 v19, v20, v10, -v32
	v_fma_f32 v20, v22, v4, -v34
	;; [unrolled: 1-line block ×4, first 2 shown]
	v_fmac_f32_e32 v49, v13, v2
	v_fmac_f32_e32 v37, v25, v6
	v_fma_f32 v13, v26, v0, -v38
	v_dual_fmac_f32 v39, v27, v0 :: v_dual_add_f32 v26, v20, v21
	s_delay_alu instid0(VALU_DEP_4) | instskip(SKIP_2) | instid1(VALU_DEP_4)
	v_dual_add_f32 v22, v18, v12 :: v_dual_add_f32 v23, v31, v49
	v_sub_f32_e32 v20, v21, v20
	v_sub_f32_e32 v12, v18, v12
	v_dual_sub_f32 v18, v31, v49 :: v_dual_add_f32 v25, v33, v39
	v_add_f32_e32 v24, v19, v13
	v_sub_f32_e32 v13, v19, v13
	v_sub_f32_e32 v19, v33, v39
	v_add_f32_e32 v27, v35, v37
	s_delay_alu instid0(VALU_DEP_4)
	v_dual_sub_f32 v21, v37, v35 :: v_dual_add_f32 v30, v24, v22
	v_dual_add_f32 v31, v25, v23 :: v_dual_sub_f32 v32, v24, v22
	v_dual_sub_f32 v24, v26, v24 :: v_dual_sub_f32 v33, v25, v23
	v_add_f32_e32 v34, v20, v13
	v_dual_sub_f32 v22, v22, v26 :: v_dual_sub_f32 v23, v23, v27
	v_dual_sub_f32 v36, v20, v13 :: v_dual_add_f32 v35, v21, v19
	v_dual_add_f32 v26, v26, v30 :: v_dual_sub_f32 v37, v21, v19
	s_delay_alu instid0(VALU_DEP_4) | instskip(SKIP_2) | instid1(VALU_DEP_3)
	v_dual_add_f32 v30, v34, v12 :: v_dual_sub_f32 v25, v27, v25
	v_dual_sub_f32 v20, v12, v20 :: v_dual_sub_f32 v21, v18, v21
	v_dual_sub_f32 v38, v13, v12 :: v_dual_sub_f32 v19, v19, v18
	v_dual_mul_f32 v34, 0x3d64c772, v25 :: v_dual_add_f32 v27, v27, v31
	v_mul_f32_e32 v22, 0x3f4a47b2, v22
	v_dual_add_f32 v18, v35, v18 :: v_dual_mul_f32 v23, 0x3f4a47b2, v23
	v_dual_mul_f32 v31, 0x3d64c772, v24 :: v_dual_add_f32 v12, v16, v26
	v_dual_mul_f32 v35, 0xbf08b237, v36 :: v_dual_mul_f32 v36, 0xbf08b237, v37
	s_delay_alu instid0(VALU_DEP_4) | instskip(NEXT) | instid1(VALU_DEP_3)
	v_dual_add_f32 v13, v17, v27 :: v_dual_fmamk_f32 v16, v24, 0x3d64c772, v22
	v_fma_f32 v24, 0x3f3bfb3b, v32, -v31
	v_fma_f32 v22, 0xbf3bfb3b, v32, -v22
	s_delay_alu instid0(VALU_DEP_4)
	v_dual_fmamk_f32 v31, v20, 0x3eae86e6, v35 :: v_dual_fmamk_f32 v32, v21, 0x3eae86e6, v36
	v_fmamk_f32 v17, v25, 0x3d64c772, v23
	v_fma_f32 v25, 0x3f3bfb3b, v33, -v34
	v_fma_f32 v34, 0x3f5ff5aa, v19, -v36
	;; [unrolled: 1-line block ×3, first 2 shown]
	v_fmac_f32_e32 v32, 0x3ee1c552, v18
	v_mul_f32_e32 v39, 0x3f5ff5aa, v19
	v_fmamk_f32 v19, v26, 0xbf955555, v12
	v_mul_f32_e32 v37, 0x3f5ff5aa, v38
	v_fma_f32 v33, 0x3f5ff5aa, v38, -v35
	v_mad_co_u64_u32 v[28:29], null, v43, 48, s[6:7]
	s_delay_alu instid0(VALU_DEP_4) | instskip(NEXT) | instid1(VALU_DEP_4)
	v_add_f32_e32 v26, v16, v19
	v_fma_f32 v35, 0xbeae86e6, v20, -v37
	v_fmamk_f32 v20, v27, 0xbf955555, v13
	v_dual_add_f32 v24, v24, v19 :: v_dual_fmac_f32 v31, 0x3ee1c552, v30
	s_delay_alu instid0(VALU_DEP_2)
	v_dual_fmac_f32 v34, 0x3ee1c552, v18 :: v_dual_add_f32 v37, v23, v20
	v_dual_add_f32 v27, v17, v20 :: v_dual_add_f32 v16, v32, v26
	v_fma_f32 v36, 0xbeae86e6, v21, -v39
	v_fmac_f32_e32 v33, 0x3ee1c552, v30
	v_add_f32_e32 v23, v25, v20
	v_sub_f32_e32 v26, v26, v32
	s_delay_alu instid0(VALU_DEP_4) | instskip(SKIP_3) | instid1(VALU_DEP_3)
	v_fmac_f32_e32 v36, 0x3ee1c552, v18
	v_dual_fmac_f32 v35, 0x3ee1c552, v30 :: v_dual_add_f32 v30, v22, v19
	v_dual_sub_f32 v17, v27, v31 :: v_dual_add_f32 v22, v34, v24
	v_dual_sub_f32 v20, v24, v34 :: v_dual_add_f32 v21, v33, v23
	v_add_f32_e32 v18, v36, v30
	s_delay_alu instid0(VALU_DEP_4)
	v_dual_sub_f32 v24, v30, v36 :: v_dual_sub_f32 v19, v37, v35
	v_sub_f32_e32 v23, v23, v33
	v_add_f32_e32 v25, v35, v37
	v_add_f32_e32 v27, v31, v27
	ds_store_2addr_b64 v46, v[12:13], v[16:17] offset1:9
	ds_store_2addr_b64 v46, v[18:19], v[20:21] offset0:18 offset1:27
	ds_store_2addr_b64 v46, v[22:23], v[24:25] offset0:36 offset1:45
	ds_store_b64 v46, v[26:27] offset:432
	global_wb scope:SCOPE_SE
	s_wait_dscnt 0x0
	s_barrier_signal -1
	s_barrier_wait -1
	global_inv scope:SCOPE_SE
	s_clause 0x2
	global_load_b128 v[24:27], v[28:29], off offset:432
	global_load_b128 v[20:23], v[28:29], off offset:448
	global_load_b128 v[16:19], v[28:29], off offset:464
	ds_load_2addr_b64 v[28:31], v44 offset1:63
	ds_load_2addr_b64 v[32:35], v44 offset0:126 offset1:189
	ds_load_2addr_b64 v[36:39], v47 offset0:124 offset1:187
	ds_load_b64 v[12:13], v44 offset:3024
	s_wait_loadcnt_dscnt 0x202
	v_dual_mul_f32 v48, v31, v25 :: v_dual_mul_f32 v51, v32, v27
	s_wait_loadcnt_dscnt 0x0
	v_dual_mul_f32 v49, v30, v25 :: v_dual_mul_f32 v58, v13, v19
	v_mul_f32_e32 v50, v33, v27
	v_dual_mul_f32 v52, v35, v21 :: v_dual_mul_f32 v55, v36, v23
	v_mul_f32_e32 v54, v37, v23
	v_dual_mul_f32 v56, v39, v17 :: v_dual_mul_f32 v59, v12, v19
	v_fma_f32 v30, v30, v24, -v48
	v_fma_f32 v12, v12, v18, -v58
	v_fmac_f32_e32 v51, v33, v26
	v_fma_f32 v33, v36, v22, -v54
	v_fmac_f32_e32 v49, v31, v24
	v_fma_f32 v31, v32, v26, -v50
	v_fma_f32 v32, v34, v20, -v52
	v_fmac_f32_e32 v59, v13, v18
	v_fma_f32 v13, v38, v16, -v56
	v_mul_f32_e32 v57, v38, v17
	s_delay_alu instid0(VALU_DEP_4) | instskip(SKIP_1) | instid1(VALU_DEP_4)
	v_add_f32_e32 v38, v32, v33
	v_sub_f32_e32 v32, v33, v32
	v_add_f32_e32 v36, v31, v13
	v_mul_f32_e32 v53, v34, v21
	v_dual_add_f32 v34, v30, v12 :: v_dual_fmac_f32 v55, v37, v22
	v_fmac_f32_e32 v57, v39, v16
	v_sub_f32_e32 v12, v30, v12
	v_sub_f32_e32 v30, v49, v59
	s_delay_alu instid0(VALU_DEP_4) | instskip(SKIP_3) | instid1(VALU_DEP_3)
	v_dual_sub_f32 v50, v36, v34 :: v_dual_fmac_f32 v53, v35, v20
	v_dual_add_f32 v48, v36, v34 :: v_dual_sub_f32 v13, v31, v13
	v_dual_add_f32 v35, v49, v59 :: v_dual_sub_f32 v34, v34, v38
	v_dual_add_f32 v37, v51, v57 :: v_dual_sub_f32 v36, v38, v36
	v_dual_sub_f32 v33, v55, v53 :: v_dual_add_f32 v38, v38, v48
	s_delay_alu instid0(VALU_DEP_4)
	v_dual_add_f32 v39, v53, v55 :: v_dual_add_f32 v52, v32, v13
	v_sub_f32_e32 v31, v51, v57
	v_sub_f32_e32 v54, v32, v13
	v_dual_sub_f32 v32, v12, v32 :: v_dual_add_f32 v49, v37, v35
	v_dual_mul_f32 v34, 0x3f4a47b2, v34 :: v_dual_sub_f32 v51, v37, v35
	v_mul_f32_e32 v48, 0x3d64c772, v36
	v_sub_f32_e32 v13, v13, v12
	v_dual_add_f32 v12, v52, v12 :: v_dual_add_f32 v53, v33, v31
	v_sub_f32_e32 v55, v33, v31
	v_dual_sub_f32 v35, v35, v39 :: v_dual_mul_f32 v52, 0xbf08b237, v54
	v_dual_sub_f32 v33, v30, v33 :: v_dual_fmamk_f32 v36, v36, 0x3d64c772, v34
	v_fma_f32 v48, 0x3f3bfb3b, v50, -v48
	v_fma_f32 v34, 0xbf3bfb3b, v50, -v34
	s_delay_alu instid0(VALU_DEP_4)
	v_dual_fmamk_f32 v50, v32, 0x3eae86e6, v52 :: v_dual_sub_f32 v31, v31, v30
	v_mul_f32_e32 v54, 0x3f5ff5aa, v13
	v_dual_add_f32 v30, v53, v30 :: v_dual_mul_f32 v53, 0xbf08b237, v55
	v_dual_sub_f32 v37, v39, v37 :: v_dual_add_f32 v28, v28, v38
	v_fma_f32 v13, 0x3f5ff5aa, v13, -v52
	v_fmac_f32_e32 v50, 0x3ee1c552, v12
	s_delay_alu instid0(VALU_DEP_4) | instskip(SKIP_2) | instid1(VALU_DEP_3)
	v_fma_f32 v52, 0x3f5ff5aa, v31, -v53
	v_add_f32_e32 v39, v39, v49
	v_mul_f32_e32 v55, 0x3f5ff5aa, v31
	v_fmac_f32_e32 v52, 0x3ee1c552, v30
	v_fmamk_f32 v31, v38, 0xbf955555, v28
	v_mul_f32_e32 v49, 0x3d64c772, v37
	s_delay_alu instid0(VALU_DEP_1) | instskip(SKIP_1) | instid1(VALU_DEP_1)
	v_fma_f32 v49, 0x3f3bfb3b, v51, -v49
	v_mul_f32_e32 v35, 0x3f4a47b2, v35
	v_fmamk_f32 v37, v37, 0x3d64c772, v35
	v_fma_f32 v35, 0xbf3bfb3b, v51, -v35
	v_fmamk_f32 v51, v33, 0x3eae86e6, v53
	v_fma_f32 v53, 0xbeae86e6, v32, -v54
	v_fma_f32 v54, 0xbeae86e6, v33, -v55
	s_delay_alu instid0(VALU_DEP_1) | instskip(NEXT) | instid1(VALU_DEP_1)
	v_dual_add_f32 v29, v29, v39 :: v_dual_fmac_f32 v54, 0x3ee1c552, v30
	v_dual_fmamk_f32 v32, v39, 0xbf955555, v29 :: v_dual_add_f32 v33, v48, v31
	v_dual_add_f32 v34, v34, v31 :: v_dual_fmac_f32 v13, 0x3ee1c552, v12
	s_delay_alu instid0(VALU_DEP_2)
	v_add_f32_e32 v55, v37, v32
	v_add_f32_e32 v35, v35, v32
	;; [unrolled: 1-line block ×3, first 2 shown]
	v_sub_f32_e32 v38, v33, v52
	v_dual_add_f32 v32, v52, v33 :: v_dual_fmac_f32 v51, 0x3ee1c552, v30
	v_dual_fmac_f32 v53, 0x3ee1c552, v12 :: v_dual_add_f32 v12, v36, v31
	v_sub_f32_e32 v31, v55, v50
	v_add_f32_e32 v36, v54, v34
	v_dual_sub_f32 v34, v34, v54 :: v_dual_add_f32 v39, v13, v48
	s_delay_alu instid0(VALU_DEP_4)
	v_add_f32_e32 v30, v51, v12
	v_dual_sub_f32 v12, v12, v51 :: v_dual_sub_f32 v37, v35, v53
	v_sub_f32_e32 v33, v48, v13
	v_add_f32_e32 v35, v53, v35
	v_add_f32_e32 v13, v50, v55
	ds_store_2addr_b64 v44, v[28:29], v[30:31] offset1:63
	ds_store_2addr_b64 v44, v[36:37], v[38:39] offset0:126 offset1:189
	ds_store_2addr_b64 v47, v[32:33], v[34:35] offset0:124 offset1:187
	ds_store_b64 v44, v[12:13] offset:3024
	global_wb scope:SCOPE_SE
	s_wait_dscnt 0x0
	s_barrier_signal -1
	s_barrier_wait -1
	global_inv scope:SCOPE_SE
	s_and_saveexec_b32 s6, vcc_lo
	s_cbranch_execz .LBB0_9
; %bb.8:
	s_add_nc_u64 s[10:11], s[8:9], 0xdc8
	s_clause 0x8
	global_load_b64 v[51:52], v44, s[8:9] offset:3528
	global_load_b64 v[53:54], v44, s[10:11] offset:392
	;; [unrolled: 1-line block ×9, first 2 shown]
	ds_load_2addr_b64 v[47:50], v44 offset1:49
	s_wait_loadcnt_dscnt 0x700
	v_dual_mul_f32 v56, v48, v52 :: v_dual_mul_f32 v57, v50, v54
	v_dual_mul_f32 v55, v47, v52 :: v_dual_mul_f32 v52, v49, v54
	s_delay_alu instid0(VALU_DEP_2) | instskip(NEXT) | instid1(VALU_DEP_2)
	v_fma_f32 v54, v47, v51, -v56
	v_dual_fmac_f32 v55, v48, v51 :: v_dual_fmac_f32 v52, v50, v53
	s_delay_alu instid0(VALU_DEP_4)
	v_fma_f32 v51, v49, v53, -v57
	ds_store_2addr_b64 v44, v[54:55], v[51:52] offset1:49
	ds_load_2addr_b64 v[47:50], v44 offset0:98 offset1:147
	s_wait_loadcnt_dscnt 0x500
	v_dual_mul_f32 v78, v50, v62 :: v_dual_add_nc_u32 v77, 0x800, v44
	ds_load_2addr_b64 v[51:54], v44 offset0:196 offset1:245
	ds_load_2addr_b64 v[55:58], v77 offset0:38 offset1:87
	ds_load_b64 v[73:74], v44 offset:3136
	v_mul_f32_e32 v75, v48, v60
	v_mul_f32_e32 v76, v47, v60
	;; [unrolled: 1-line block ×3, first 2 shown]
	s_delay_alu instid0(VALU_DEP_3) | instskip(NEXT) | instid1(VALU_DEP_3)
	v_fma_f32 v75, v47, v59, -v75
	v_fmac_f32_e32 v76, v48, v59
	v_fma_f32 v59, v49, v61, -v78
	s_wait_loadcnt_dscnt 0x402
	v_dual_fmac_f32 v60, v50, v61 :: v_dual_mul_f32 v79, v52, v64
	s_wait_loadcnt 0x3
	v_mul_f32_e32 v80, v54, v66
	v_mul_f32_e32 v62, v51, v64
	s_wait_loadcnt_dscnt 0x201
	v_dual_mul_f32 v64, v53, v66 :: v_dual_mul_f32 v81, v56, v68
	v_mul_f32_e32 v66, v55, v68
	s_wait_loadcnt 0x1
	v_mul_f32_e32 v82, v58, v70
	s_wait_loadcnt_dscnt 0x0
	v_dual_mul_f32 v68, v57, v70 :: v_dual_mul_f32 v83, v74, v72
	v_mul_f32_e32 v70, v73, v72
	v_fma_f32 v61, v51, v63, -v79
	v_fmac_f32_e32 v62, v52, v63
	v_fma_f32 v63, v53, v65, -v80
	v_fmac_f32_e32 v64, v54, v65
	;; [unrolled: 2-line block ×5, first 2 shown]
	ds_store_2addr_b64 v44, v[75:76], v[59:60] offset0:98 offset1:147
	ds_store_2addr_b64 v44, v[61:62], v[63:64] offset0:196 offset1:245
	;; [unrolled: 1-line block ×3, first 2 shown]
	ds_store_b64 v44, v[69:70] offset:3136
.LBB0_9:
	s_wait_alu 0xfffe
	s_or_b32 exec_lo, exec_lo, s6
	global_wb scope:SCOPE_SE
	s_wait_dscnt 0x0
	s_barrier_signal -1
	s_barrier_wait -1
	global_inv scope:SCOPE_SE
	s_and_saveexec_b32 s6, vcc_lo
	s_cbranch_execz .LBB0_11
; %bb.10:
	v_add_nc_u32_e32 v12, 0x800, v44
	ds_load_2addr_b64 v[28:31], v44 offset1:49
	ds_load_2addr_b64 v[36:39], v44 offset0:98 offset1:147
	ds_load_2addr_b64 v[32:35], v44 offset0:196 offset1:245
	;; [unrolled: 1-line block ×3, first 2 shown]
	ds_load_b64 v[41:42], v44 offset:3136
.LBB0_11:
	s_wait_alu 0xfffe
	s_or_b32 exec_lo, exec_lo, s6
	global_wb scope:SCOPE_SE
	s_wait_dscnt 0x0
	s_barrier_signal -1
	s_barrier_wait -1
	global_inv scope:SCOPE_SE
	s_and_saveexec_b32 s6, vcc_lo
	s_cbranch_execz .LBB0_13
; %bb.12:
	v_dual_sub_f32 v47, v32, v34 :: v_dual_add_f32 v48, v15, v37
	v_dual_sub_f32 v49, v36, v14 :: v_dual_add_f32 v50, v35, v33
	;; [unrolled: 1-line block ×3, first 2 shown]
	s_delay_alu instid0(VALU_DEP_3) | instskip(NEXT) | instid1(VALU_DEP_4)
	v_dual_mul_f32 v51, 0x3f7c1c5c, v47 :: v_dual_sub_f32 v54, v38, v12
	v_dual_fmamk_f32 v52, v48, 0x3f441b7d, v29 :: v_dual_sub_f32 v53, v30, v41
	v_add_f32_e32 v55, v13, v39
	s_delay_alu instid0(VALU_DEP_3) | instskip(SKIP_1) | instid1(VALU_DEP_4)
	v_fma_f32 v51, 0xbf248dbb, v49, -v51
	v_add_f32_e32 v56, v42, v31
	v_dual_fmac_f32 v52, 0x3e31d0d4, v50 :: v_dual_sub_f32 v57, v33, v35
	s_delay_alu instid0(VALU_DEP_3) | instskip(SKIP_1) | instid1(VALU_DEP_3)
	v_dual_add_f32 v58, v34, v32 :: v_dual_fmac_f32 v51, 0x3f5db3d7, v54
	v_dual_fmamk_f32 v59, v36, 0x3f441b7d, v28 :: v_dual_sub_f32 v42, v31, v42
	v_fmac_f32_e32 v52, -0.5, v55
	s_delay_alu instid0(VALU_DEP_4) | instskip(NEXT) | instid1(VALU_DEP_4)
	v_dual_mul_f32 v14, 0x3f7c1c5c, v57 :: v_dual_add_f32 v41, v41, v30
	v_fmac_f32_e32 v51, 0x3eaf1d44, v53
	s_delay_alu instid0(VALU_DEP_3) | instskip(NEXT) | instid1(VALU_DEP_3)
	v_dual_sub_f32 v39, v39, v13 :: v_dual_fmac_f32 v52, 0xbf708fb2, v56
	v_fma_f32 v14, 0xbf248dbb, v37, -v14
	v_fmac_f32_e32 v59, 0x3e31d0d4, v58
	v_add_f32_e32 v38, v12, v38
	v_add_f32_e32 v12, v48, v56
	v_dual_add_f32 v13, v51, v52 :: v_dual_add_f32 v52, v36, v41
	s_delay_alu instid0(VALU_DEP_3) | instskip(NEXT) | instid1(VALU_DEP_3)
	v_dual_fmac_f32 v59, -0.5, v38 :: v_dual_fmac_f32 v14, 0x3f5db3d7, v39
	v_add_f32_e32 v30, v55, v12
	s_delay_alu instid0(VALU_DEP_3) | instskip(NEXT) | instid1(VALU_DEP_4)
	v_add_f32_e32 v31, v38, v52
	v_fma_f32 v15, -2.0, v51, v13
	s_delay_alu instid0(VALU_DEP_4)
	v_fmac_f32_e32 v59, 0xbf708fb2, v41
	v_fmac_f32_e32 v14, 0x3eaf1d44, v42
	v_add_f32_e32 v30, v33, v30
	v_dual_add_f32 v32, v32, v31 :: v_dual_add_f32 v51, v50, v12
	v_add_f32_e32 v33, v47, v53
	v_add_f32_e32 v31, v55, v29
	v_sub_f32_e32 v12, v59, v14
	v_dual_add_f32 v30, v35, v30 :: v_dual_fmamk_f32 v59, v50, 0x3f441b7d, v29
	s_delay_alu instid0(VALU_DEP_3)
	v_fmac_f32_e32 v31, -0.5, v51
	v_add_f32_e32 v51, v58, v52
	v_add_f32_e32 v32, v34, v32
	v_sub_f32_e32 v34, v33, v49
	v_add_f32_e32 v33, v29, v30
	v_fmac_f32_e32 v59, 0x3e31d0d4, v56
	v_add_f32_e32 v30, v38, v28
	s_delay_alu instid0(VALU_DEP_4)
	v_dual_add_f32 v32, v28, v32 :: v_dual_mul_f32 v35, 0x3f5db3d7, v34
	v_fmac_f32_e32 v31, 0x3f5db3d7, v34
	v_add_f32_e32 v34, v57, v42
	v_dual_mul_f32 v60, 0xbf248dbb, v57 :: v_dual_fmac_f32 v59, -0.5, v55
	v_fmac_f32_e32 v29, 0x3f441b7d, v56
	v_mul_f32_e32 v56, 0x3f248dbb, v42
	s_delay_alu instid0(VALU_DEP_4) | instskip(SKIP_2) | instid1(VALU_DEP_4)
	v_sub_f32_e32 v34, v34, v37
	v_fma_f32 v14, 2.0, v14, v12
	v_dual_fmac_f32 v59, 0xbf708fb2, v48 :: v_dual_fmac_f32 v30, -0.5, v51
	v_fmac_f32_e32 v56, 0x3f7c1c5c, v37
	s_delay_alu instid0(VALU_DEP_4) | instskip(SKIP_1) | instid1(VALU_DEP_4)
	v_mul_f32_e32 v51, 0x3f5db3d7, v34
	v_fma_f32 v35, -2.0, v35, v31
	v_fmac_f32_e32 v30, 0xbf5db3d7, v34
	s_delay_alu instid0(VALU_DEP_4) | instskip(NEXT) | instid1(VALU_DEP_2)
	v_fmac_f32_e32 v56, 0x3f5db3d7, v39
	v_fma_f32 v34, 2.0, v51, v30
	s_delay_alu instid0(VALU_DEP_2) | instskip(SKIP_2) | instid1(VALU_DEP_1)
	v_fmac_f32_e32 v56, 0x3eaf1d44, v57
	v_fmamk_f32 v51, v58, 0x3f441b7d, v28
	v_fmac_f32_e32 v28, 0x3f441b7d, v41
	v_fmac_f32_e32 v28, 0x3e31d0d4, v36
	s_delay_alu instid0(VALU_DEP_1) | instskip(NEXT) | instid1(VALU_DEP_1)
	v_dual_fmac_f32 v29, 0x3e31d0d4, v48 :: v_dual_fmac_f32 v28, -0.5, v38
	v_dual_fmac_f32 v29, -0.5, v55 :: v_dual_fmac_f32 v28, 0xbf708fb2, v58
	s_delay_alu instid0(VALU_DEP_1) | instskip(SKIP_2) | instid1(VALU_DEP_3)
	v_dual_fmac_f32 v29, 0xbf708fb2, v50 :: v_dual_sub_f32 v28, v28, v56
	v_fmac_f32_e32 v51, 0x3e31d0d4, v41
	v_mul_f32_e32 v52, 0xbf248dbb, v47
	v_fma_f32 v41, 2.0, v56, v28
	s_delay_alu instid0(VALU_DEP_2) | instskip(SKIP_1) | instid1(VALU_DEP_2)
	v_dual_fmac_f32 v51, -0.5, v38 :: v_dual_fmac_f32 v52, 0x3f7c1c5c, v53
	v_and_b32_e32 v38, 0xffff, v45
	v_fmac_f32_e32 v51, 0xbf708fb2, v36
	v_mul_f32_e32 v53, 0x3f248dbb, v53
	v_fmac_f32_e32 v60, 0x3f7c1c5c, v42
	s_delay_alu instid0(VALU_DEP_4) | instskip(NEXT) | instid1(VALU_DEP_3)
	v_lshlrev_b32_e32 v45, 3, v38
	v_fmac_f32_e32 v53, 0x3f7c1c5c, v49
	s_delay_alu instid0(VALU_DEP_3) | instskip(NEXT) | instid1(VALU_DEP_2)
	v_fmac_f32_e32 v60, 0xbf5db3d7, v39
	v_fmac_f32_e32 v53, 0x3f5db3d7, v54
	s_delay_alu instid0(VALU_DEP_1) | instskip(SKIP_1) | instid1(VALU_DEP_2)
	v_dual_fmac_f32 v60, 0x3eaf1d44, v37 :: v_dual_fmac_f32 v53, 0x3eaf1d44, v47
	v_fmac_f32_e32 v52, 0xbf5db3d7, v54
	v_dual_sub_f32 v36, v51, v60 :: v_dual_add_f32 v29, v53, v29
	s_delay_alu instid0(VALU_DEP_2) | instskip(NEXT) | instid1(VALU_DEP_2)
	v_fmac_f32_e32 v52, 0x3eaf1d44, v49
	v_fma_f32 v38, 2.0, v60, v36
	s_delay_alu instid0(VALU_DEP_3) | instskip(NEXT) | instid1(VALU_DEP_3)
	v_fma_f32 v42, -2.0, v53, v29
	v_add_f32_e32 v37, v52, v59
	s_delay_alu instid0(VALU_DEP_1)
	v_fma_f32 v39, -2.0, v52, v37
	ds_store_2addr_b64 v45, v[32:33], v[28:29] offset1:1
	ds_store_2addr_b64 v45, v[36:37], v[30:31] offset0:2 offset1:3
	ds_store_2addr_b64 v45, v[12:13], v[14:15] offset0:4 offset1:5
	;; [unrolled: 1-line block ×3, first 2 shown]
	ds_store_b64 v45, v[41:42] offset:64
.LBB0_13:
	s_wait_alu 0xfffe
	s_or_b32 exec_lo, exec_lo, s6
	global_wb scope:SCOPE_SE
	s_wait_dscnt 0x0
	s_barrier_signal -1
	s_barrier_wait -1
	global_inv scope:SCOPE_SE
	ds_load_2addr_b64 v[28:31], v44 offset1:63
	ds_load_2addr_b64 v[32:35], v44 offset0:126 offset1:189
	ds_load_b64 v[13:14], v44 offset:3024
	s_wait_dscnt 0x2
	v_dual_mul_f32 v15, v9, v31 :: v_dual_add_nc_u32 v12, 0x400, v44
	ds_load_2addr_b64 v[36:39], v12 offset0:124 offset1:187
	v_mul_f32_e32 v9, v9, v30
	s_wait_dscnt 0x2
	v_dual_mul_f32 v41, v11, v33 :: v_dual_mul_f32 v42, v5, v35
	v_mul_f32_e32 v11, v11, v32
	v_mul_f32_e32 v5, v5, v34
	s_wait_dscnt 0x1
	v_mul_f32_e32 v45, v3, v14
	v_fmac_f32_e32 v15, v8, v30
	v_fma_f32 v8, v8, v31, -v9
	v_dual_fmac_f32 v41, v10, v32 :: v_dual_fmac_f32 v42, v4, v34
	v_fma_f32 v9, v10, v33, -v11
	v_fma_f32 v4, v4, v35, -v5
	global_wb scope:SCOPE_SE
	s_wait_dscnt 0x0
	s_barrier_signal -1
	s_barrier_wait -1
	global_inv scope:SCOPE_SE
	v_dual_mul_f32 v10, v1, v39 :: v_dual_mul_f32 v3, v3, v13
	s_delay_alu instid0(VALU_DEP_1) | instskip(NEXT) | instid1(VALU_DEP_2)
	v_dual_fmac_f32 v10, v0, v38 :: v_dual_fmac_f32 v45, v2, v13
	v_fma_f32 v2, v2, v14, -v3
	v_mul_f32_e32 v5, v7, v37
	v_mul_f32_e32 v7, v7, v36
	s_delay_alu instid0(VALU_DEP_1) | instskip(NEXT) | instid1(VALU_DEP_1)
	v_fma_f32 v3, v6, v37, -v7
	v_add_f32_e32 v13, v4, v3
	v_sub_f32_e32 v3, v3, v4
	v_mul_f32_e32 v1, v1, v38
	s_delay_alu instid0(VALU_DEP_1) | instskip(NEXT) | instid1(VALU_DEP_1)
	v_fma_f32 v0, v0, v39, -v1
	v_add_f32_e32 v11, v9, v0
	v_dual_fmac_f32 v5, v6, v36 :: v_dual_add_f32 v6, v8, v2
	v_sub_f32_e32 v2, v8, v2
	v_add_f32_e32 v8, v41, v10
	v_sub_f32_e32 v10, v41, v10
	v_sub_f32_e32 v0, v9, v0
	v_dual_add_f32 v14, v11, v6 :: v_dual_add_f32 v9, v42, v5
	v_add_f32_e32 v1, v15, v45
	s_delay_alu instid0(VALU_DEP_3) | instskip(SKIP_1) | instid1(VALU_DEP_3)
	v_add_f32_e32 v32, v3, v0
	v_sub_f32_e32 v34, v3, v0
	v_add_f32_e32 v4, v8, v1
	v_sub_f32_e32 v7, v15, v45
	v_dual_sub_f32 v15, v8, v1 :: v_dual_sub_f32 v8, v9, v8
	v_sub_f32_e32 v31, v1, v9
	s_delay_alu instid0(VALU_DEP_4) | instskip(SKIP_2) | instid1(VALU_DEP_2)
	v_add_f32_e32 v4, v9, v4
	v_sub_f32_e32 v5, v5, v42
	v_add_f32_e32 v9, v13, v14
	v_add_f32_e32 v1, v5, v10
	v_dual_sub_f32 v33, v5, v10 :: v_dual_sub_f32 v10, v10, v7
	v_sub_f32_e32 v30, v11, v6
	v_dual_sub_f32 v6, v6, v13 :: v_dual_sub_f32 v11, v13, v11
	v_sub_f32_e32 v13, v0, v2
	v_dual_add_f32 v0, v28, v4 :: v_dual_sub_f32 v5, v7, v5
	s_delay_alu instid0(VALU_DEP_3) | instskip(SKIP_4) | instid1(VALU_DEP_4)
	v_mul_f32_e32 v6, 0x3f4a47b2, v6
	v_mul_f32_e32 v14, 0x3f4a47b2, v31
	v_dual_sub_f32 v3, v2, v3 :: v_dual_add_f32 v2, v32, v2
	v_mul_f32_e32 v28, 0x3d64c772, v8
	v_mul_f32_e32 v32, 0x3f08b237, v34
	v_fmamk_f32 v8, v8, 0x3d64c772, v14
	v_mul_f32_e32 v34, 0xbf5ff5aa, v13
	v_fmamk_f32 v4, v4, 0xbf955555, v0
	v_fma_f32 v28, 0x3f3bfb3b, v15, -v28
	v_add_f32_e32 v7, v1, v7
	v_fma_f32 v14, 0xbf3bfb3b, v15, -v14
	v_add_f32_e32 v1, v29, v9
	v_mul_f32_e32 v29, 0x3d64c772, v11
	v_fma_f32 v13, 0xbf5ff5aa, v13, -v32
	s_delay_alu instid0(VALU_DEP_4) | instskip(NEXT) | instid1(VALU_DEP_3)
	v_add_f32_e32 v14, v14, v4
	v_fma_f32 v29, 0x3f3bfb3b, v30, -v29
	s_delay_alu instid0(VALU_DEP_3) | instskip(SKIP_4) | instid1(VALU_DEP_2)
	v_fmac_f32_e32 v13, 0xbee1c552, v2
	v_fmamk_f32 v11, v11, 0x3d64c772, v6
	v_fma_f32 v6, 0xbf3bfb3b, v30, -v6
	v_fmamk_f32 v30, v3, 0xbeae86e6, v32
	v_fma_f32 v32, 0x3eae86e6, v3, -v34
	v_fmac_f32_e32 v30, 0xbee1c552, v2
	s_delay_alu instid0(VALU_DEP_2) | instskip(SKIP_2) | instid1(VALU_DEP_2)
	v_fmac_f32_e32 v32, 0xbee1c552, v2
	v_mul_f32_e32 v31, 0x3f08b237, v33
	v_mul_f32_e32 v33, 0xbf5ff5aa, v10
	v_fmamk_f32 v15, v5, 0xbeae86e6, v31
	v_fma_f32 v10, 0xbf5ff5aa, v10, -v31
	s_delay_alu instid0(VALU_DEP_3) | instskip(SKIP_4) | instid1(VALU_DEP_4)
	v_fma_f32 v31, 0x3eae86e6, v5, -v33
	v_add_f32_e32 v33, v8, v4
	v_dual_fmamk_f32 v9, v9, 0xbf955555, v1 :: v_dual_add_f32 v8, v28, v4
	v_fmac_f32_e32 v15, 0xbee1c552, v7
	v_fmac_f32_e32 v10, 0xbee1c552, v7
	v_add_f32_e32 v2, v30, v33
	s_delay_alu instid0(VALU_DEP_4)
	v_add_f32_e32 v28, v6, v9
	v_sub_f32_e32 v6, v8, v13
	v_add_f32_e32 v8, v13, v8
	v_add_f32_e32 v34, v11, v9
	;; [unrolled: 1-line block ×3, first 2 shown]
	v_dual_fmac_f32 v31, 0xbee1c552, v7 :: v_dual_add_f32 v4, v32, v14
	v_sub_f32_e32 v13, v33, v30
	s_delay_alu instid0(VALU_DEP_4) | instskip(NEXT) | instid1(VALU_DEP_4)
	v_sub_f32_e32 v3, v34, v15
	v_add_f32_e32 v7, v10, v11
	s_delay_alu instid0(VALU_DEP_4)
	v_sub_f32_e32 v5, v28, v31
	v_dual_sub_f32 v9, v11, v10 :: v_dual_sub_f32 v10, v14, v32
	v_add_f32_e32 v11, v31, v28
	v_add_f32_e32 v14, v15, v34
	ds_store_2addr_b64 v46, v[0:1], v[2:3] offset1:9
	ds_store_2addr_b64 v46, v[4:5], v[6:7] offset0:18 offset1:27
	ds_store_2addr_b64 v46, v[8:9], v[10:11] offset0:36 offset1:45
	ds_store_b64 v46, v[13:14] offset:432
	global_wb scope:SCOPE_SE
	s_wait_dscnt 0x0
	s_barrier_signal -1
	s_barrier_wait -1
	global_inv scope:SCOPE_SE
	ds_load_2addr_b64 v[0:3], v44 offset1:63
	ds_load_2addr_b64 v[4:7], v44 offset0:126 offset1:189
	ds_load_2addr_b64 v[8:11], v12 offset0:124 offset1:187
	ds_load_b64 v[13:14], v44 offset:3024
	s_wait_dscnt 0x3
	v_mul_f32_e32 v15, v25, v3
	v_mul_f32_e32 v25, v25, v2
	s_delay_alu instid0(VALU_DEP_2) | instskip(NEXT) | instid1(VALU_DEP_2)
	v_fmac_f32_e32 v15, v24, v2
	v_fma_f32 v2, v24, v3, -v25
	s_wait_dscnt 0x2
	v_mul_f32_e32 v3, v27, v5
	v_dual_mul_f32 v24, v27, v4 :: v_dual_mul_f32 v25, v21, v7
	v_mul_f32_e32 v21, v21, v6
	s_wait_dscnt 0x1
	v_mul_f32_e32 v27, v23, v9
	v_fmac_f32_e32 v3, v26, v4
	v_fma_f32 v4, v26, v5, -v24
	v_fmac_f32_e32 v25, v20, v6
	v_fma_f32 v5, v20, v7, -v21
	s_wait_dscnt 0x0
	v_dual_fmac_f32 v27, v22, v8 :: v_dual_mul_f32 v6, v19, v14
	v_mul_f32_e32 v7, v19, v13
	v_dual_mul_f32 v8, v23, v8 :: v_dual_mul_f32 v19, v17, v11
	s_delay_alu instid0(VALU_DEP_3) | instskip(NEXT) | instid1(VALU_DEP_3)
	v_dual_mul_f32 v17, v17, v10 :: v_dual_fmac_f32 v6, v18, v13
	v_fma_f32 v7, v18, v14, -v7
	s_delay_alu instid0(VALU_DEP_3) | instskip(NEXT) | instid1(VALU_DEP_3)
	v_fma_f32 v8, v22, v9, -v8
	v_fma_f32 v9, v16, v11, -v17
	s_delay_alu instid0(VALU_DEP_2) | instskip(SKIP_1) | instid1(VALU_DEP_3)
	v_dual_add_f32 v11, v2, v7 :: v_dual_add_f32 v14, v5, v8
	v_sub_f32_e32 v5, v8, v5
	v_add_f32_e32 v13, v4, v9
	v_sub_f32_e32 v4, v4, v9
	v_sub_f32_e32 v2, v2, v7
	s_delay_alu instid0(VALU_DEP_2) | instskip(NEXT) | instid1(VALU_DEP_2)
	v_add_f32_e32 v20, v5, v4
	v_dual_sub_f32 v22, v5, v4 :: v_dual_sub_f32 v5, v2, v5
	v_sub_f32_e32 v4, v4, v2
	s_delay_alu instid0(VALU_DEP_3) | instskip(SKIP_4) | instid1(VALU_DEP_4)
	v_add_f32_e32 v2, v20, v2
	v_fmac_f32_e32 v19, v16, v10
	v_add_f32_e32 v10, v15, v6
	v_sub_f32_e32 v6, v15, v6
	v_dual_mul_f32 v20, 0x3f08b237, v22 :: v_dual_sub_f32 v15, v27, v25
	v_add_f32_e32 v7, v3, v19
	v_dual_sub_f32 v3, v3, v19 :: v_dual_mul_f32 v22, 0xbf5ff5aa, v4
	s_delay_alu instid0(VALU_DEP_2) | instskip(NEXT) | instid1(VALU_DEP_2)
	v_add_f32_e32 v8, v7, v10
	v_add_f32_e32 v19, v15, v3
	v_sub_f32_e32 v21, v15, v3
	v_sub_f32_e32 v15, v6, v15
	;; [unrolled: 1-line block ×4, first 2 shown]
	v_dual_add_f32 v6, v19, v6 :: v_dual_add_f32 v9, v25, v27
	v_mul_f32_e32 v19, 0x3f08b237, v21
	s_delay_alu instid0(VALU_DEP_2) | instskip(NEXT) | instid1(VALU_DEP_1)
	v_dual_mul_f32 v21, 0xbf5ff5aa, v3 :: v_dual_add_f32 v8, v9, v8
	v_add_f32_e32 v0, v0, v8
	s_delay_alu instid0(VALU_DEP_1) | instskip(SKIP_1) | instid1(VALU_DEP_1)
	v_fmamk_f32 v8, v8, 0xbf955555, v0
	v_dual_sub_f32 v10, v10, v9 :: v_dual_sub_f32 v7, v9, v7
	v_mul_f32_e32 v10, 0x3f4a47b2, v10
	v_add_f32_e32 v16, v13, v11
	v_dual_sub_f32 v18, v13, v11 :: v_dual_sub_f32 v11, v11, v14
	v_sub_f32_e32 v13, v14, v13
	s_delay_alu instid0(VALU_DEP_3) | instskip(NEXT) | instid1(VALU_DEP_3)
	v_add_f32_e32 v9, v14, v16
	v_mul_f32_e32 v11, 0x3f4a47b2, v11
	s_delay_alu instid0(VALU_DEP_3) | instskip(NEXT) | instid1(VALU_DEP_3)
	v_mul_f32_e32 v16, 0x3d64c772, v13
	v_add_f32_e32 v1, v1, v9
	s_delay_alu instid0(VALU_DEP_3) | instskip(NEXT) | instid1(VALU_DEP_3)
	v_fmamk_f32 v13, v13, 0x3d64c772, v11
	v_fma_f32 v16, 0x3f3bfb3b, v18, -v16
	v_fma_f32 v11, 0xbf3bfb3b, v18, -v11
	v_fmamk_f32 v18, v5, 0xbeae86e6, v20
	v_fmamk_f32 v9, v9, 0xbf955555, v1
	v_fma_f32 v20, 0xbf5ff5aa, v4, -v20
	s_delay_alu instid0(VALU_DEP_3) | instskip(SKIP_1) | instid1(VALU_DEP_3)
	v_fmac_f32_e32 v18, 0xbee1c552, v2
	v_dual_mul_f32 v14, 0x3d64c772, v7 :: v_dual_fmamk_f32 v7, v7, 0x3d64c772, v10
	v_dual_add_f32 v23, v13, v9 :: v_dual_fmac_f32 v20, 0xbee1c552, v2
	v_add_f32_e32 v11, v11, v9
	s_delay_alu instid0(VALU_DEP_3) | instskip(NEXT) | instid1(VALU_DEP_1)
	v_fma_f32 v14, 0x3f3bfb3b, v17, -v14
	v_dual_add_f32 v13, v14, v8 :: v_dual_add_f32 v14, v16, v9
	v_fma_f32 v10, 0xbf3bfb3b, v17, -v10
	v_fmamk_f32 v17, v15, 0xbeae86e6, v19
	v_fma_f32 v15, 0x3eae86e6, v15, -v21
	v_fma_f32 v21, 0x3eae86e6, v5, -v22
	v_add_f32_e32 v22, v7, v8
	v_add_f32_e32 v10, v10, v8
	v_add_f32_e32 v8, v20, v13
	v_fma_f32 v19, 0xbf5ff5aa, v3, -v19
	v_fmac_f32_e32 v17, 0xbee1c552, v6
	v_fmac_f32_e32 v21, 0xbee1c552, v2
	;; [unrolled: 1-line block ×3, first 2 shown]
	v_add_f32_e32 v2, v18, v22
	v_fmac_f32_e32 v19, 0xbee1c552, v6
	s_delay_alu instid0(VALU_DEP_4) | instskip(NEXT) | instid1(VALU_DEP_4)
	v_dual_sub_f32 v3, v23, v17 :: v_dual_add_f32 v4, v21, v10
	v_dual_sub_f32 v10, v10, v21 :: v_dual_sub_f32 v5, v11, v15
	s_delay_alu instid0(VALU_DEP_3)
	v_dual_sub_f32 v6, v13, v20 :: v_dual_add_f32 v7, v19, v14
	v_sub_f32_e32 v9, v14, v19
	v_add_f32_e32 v11, v15, v11
	v_dual_sub_f32 v13, v22, v18 :: v_dual_add_f32 v14, v17, v23
	ds_store_2addr_b64 v44, v[0:1], v[2:3] offset1:63
	ds_store_2addr_b64 v44, v[4:5], v[6:7] offset0:126 offset1:189
	ds_store_2addr_b64 v12, v[8:9], v[10:11] offset0:124 offset1:187
	ds_store_b64 v44, v[13:14] offset:3024
	global_wb scope:SCOPE_SE
	s_wait_dscnt 0x0
	s_barrier_signal -1
	s_barrier_wait -1
	global_inv scope:SCOPE_SE
	s_and_b32 exec_lo, exec_lo, vcc_lo
	s_cbranch_execz .LBB0_15
; %bb.14:
	s_clause 0x8
	global_load_b64 v[16:17], v44, s[8:9]
	global_load_b64 v[18:19], v44, s[8:9] offset:392
	global_load_b64 v[20:21], v44, s[8:9] offset:784
	;; [unrolled: 1-line block ×8, first 2 shown]
	ds_load_b64 v[34:35], v44
	ds_load_2addr_b64 v[0:3], v44 offset0:49 offset1:98
	ds_load_2addr_b64 v[4:7], v44 offset0:147 offset1:196
	v_add_nc_u32_e32 v13, 0x800, v44
	v_mad_co_u64_u32 v[36:37], null, s2, v40, 0
	v_mad_co_u64_u32 v[38:39], null, s0, v43, 0
	s_wait_loadcnt_dscnt 0x701
	v_mul_f32_e32 v42, v1, v19
	ds_load_2addr_b64 v[8:11], v12 offset0:117 offset1:166
	ds_load_2addr_b64 v[12:15], v13 offset0:87 offset1:136
	v_mul_f32_e32 v41, v35, v17
	v_mul_f32_e32 v17, v34, v17
	s_wait_loadcnt 0x6
	v_dual_mul_f32 v19, v0, v19 :: v_dual_mul_f32 v44, v3, v21
	v_mul_f32_e32 v21, v2, v21
	s_wait_loadcnt_dscnt 0x402
	v_dual_mul_f32 v45, v5, v23 :: v_dual_mul_f32 v46, v7, v25
	v_mul_f32_e32 v23, v4, v23
	v_dual_mul_f32 v25, v6, v25 :: v_dual_fmac_f32 v42, v0, v18
	v_fmac_f32_e32 v41, v34, v16
	v_fma_f32 v16, v16, v35, -v17
	v_fma_f32 v17, v18, v1, -v19
	;; [unrolled: 1-line block ×3, first 2 shown]
	v_fmac_f32_e32 v44, v2, v20
	v_fma_f32 v20, v24, v7, -v25
	v_cvt_f64_f32_e32 v[0:1], v41
	v_cvt_f64_f32_e32 v[2:3], v16
	s_wait_loadcnt_dscnt 0x201
	v_dual_mul_f32 v48, v11, v29 :: v_dual_mul_f32 v47, v9, v27
	s_wait_loadcnt_dscnt 0x0
	v_dual_mul_f32 v50, v15, v33 :: v_dual_mul_f32 v27, v8, v27
	v_mul_f32_e32 v29, v10, v29
	v_dual_mul_f32 v49, v13, v31 :: v_dual_fmac_f32 v46, v6, v24
	v_dual_mul_f32 v31, v12, v31 :: v_dual_fmac_f32 v48, v10, v28
	v_mul_f32_e32 v33, v14, v33
	v_dual_fmac_f32 v45, v4, v22 :: v_dual_fmac_f32 v50, v14, v32
	v_fma_f32 v19, v22, v5, -v23
	v_fmac_f32_e32 v47, v8, v26
	v_fma_f32 v22, v26, v9, -v27
	v_fma_f32 v26, v28, v11, -v29
	v_cvt_f64_f32_e32 v[4:5], v42
	v_cvt_f64_f32_e32 v[6:7], v17
	v_fmac_f32_e32 v49, v12, v30
	v_fma_f32 v30, v30, v13, -v31
	v_cvt_f64_f32_e32 v[8:9], v44
	v_cvt_f64_f32_e32 v[10:11], v18
	v_fma_f32 v34, v32, v15, -v33
	v_cvt_f64_f32_e32 v[12:13], v45
	v_cvt_f64_f32_e32 v[14:15], v19
	;; [unrolled: 1-line block ×12, first 2 shown]
	v_mad_co_u64_u32 v[40:41], null, s3, v40, v[37:38]
	s_mov_b32 s2, 0x5bb804a5
	s_mov_b32 s3, 0x3f629372
	s_wait_alu 0xfffe
	v_mul_f64_e32 v[0:1], s[2:3], v[0:1]
	v_mul_f64_e32 v[2:3], s[2:3], v[2:3]
	s_delay_alu instid0(VALU_DEP_3) | instskip(SKIP_2) | instid1(VALU_DEP_1)
	v_mad_co_u64_u32 v[41:42], null, s1, v43, v[39:40]
	v_mov_b32_e32 v37, v40
	s_mul_u64 s[0:1], s[0:1], 0x188
	v_lshlrev_b64_e32 v[36:37], 3, v[36:37]
	s_delay_alu instid0(VALU_DEP_3) | instskip(SKIP_2) | instid1(VALU_DEP_3)
	v_mov_b32_e32 v39, v41
	v_mul_f64_e32 v[4:5], s[2:3], v[4:5]
	v_mul_f64_e32 v[6:7], s[2:3], v[6:7]
	v_lshlrev_b64_e32 v[38:39], 3, v[38:39]
	v_add_co_u32 v36, vcc_lo, s4, v36
	v_mul_f64_e32 v[8:9], s[2:3], v[8:9]
	v_mul_f64_e32 v[10:11], s[2:3], v[10:11]
	;; [unrolled: 1-line block ×14, first 2 shown]
	v_add_co_ci_u32_e32 v37, vcc_lo, s5, v37, vcc_lo
	v_add_co_u32 v36, vcc_lo, v36, v38
	s_wait_alu 0xfffd
	s_delay_alu instid0(VALU_DEP_2)
	v_add_co_ci_u32_e32 v37, vcc_lo, v37, v39, vcc_lo
	v_cvt_f32_f64_e32 v0, v[0:1]
	v_cvt_f32_f64_e32 v1, v[2:3]
	s_wait_alu 0xfffe
	v_add_co_u32 v38, vcc_lo, v36, s0
	s_wait_alu 0xfffd
	v_add_co_ci_u32_e32 v39, vcc_lo, s1, v37, vcc_lo
	s_delay_alu instid0(VALU_DEP_2) | instskip(SKIP_1) | instid1(VALU_DEP_2)
	v_add_co_u32 v40, vcc_lo, v38, s0
	s_wait_alu 0xfffd
	v_add_co_ci_u32_e32 v41, vcc_lo, s1, v39, vcc_lo
	v_cvt_f32_f64_e32 v2, v[4:5]
	v_cvt_f32_f64_e32 v3, v[6:7]
	;; [unrolled: 1-line block ×16, first 2 shown]
	v_add_co_u32 v18, vcc_lo, v40, s0
	s_wait_alu 0xfffd
	v_add_co_ci_u32_e32 v19, vcc_lo, s1, v41, vcc_lo
	s_delay_alu instid0(VALU_DEP_2) | instskip(SKIP_1) | instid1(VALU_DEP_2)
	v_add_co_u32 v20, vcc_lo, v18, s0
	s_wait_alu 0xfffd
	v_add_co_ci_u32_e32 v21, vcc_lo, s1, v19, vcc_lo
	s_delay_alu instid0(VALU_DEP_2) | instskip(SKIP_1) | instid1(VALU_DEP_2)
	;; [unrolled: 4-line block ×5, first 2 shown]
	v_add_co_u32 v28, vcc_lo, v26, s0
	s_wait_alu 0xfffd
	v_add_co_ci_u32_e32 v29, vcc_lo, s1, v27, vcc_lo
	s_clause 0x4
	global_store_b64 v[36:37], v[0:1], off
	global_store_b64 v[38:39], v[2:3], off
	;; [unrolled: 1-line block ×9, first 2 shown]
.LBB0_15:
	s_nop 0
	s_sendmsg sendmsg(MSG_DEALLOC_VGPRS)
	s_endpgm
	.section	.rodata,"a",@progbits
	.p2align	6, 0x0
	.amdhsa_kernel bluestein_single_back_len441_dim1_sp_op_CI_CI
		.amdhsa_group_segment_fixed_size 3528
		.amdhsa_private_segment_fixed_size 0
		.amdhsa_kernarg_size 104
		.amdhsa_user_sgpr_count 2
		.amdhsa_user_sgpr_dispatch_ptr 0
		.amdhsa_user_sgpr_queue_ptr 0
		.amdhsa_user_sgpr_kernarg_segment_ptr 1
		.amdhsa_user_sgpr_dispatch_id 0
		.amdhsa_user_sgpr_private_segment_size 0
		.amdhsa_wavefront_size32 1
		.amdhsa_uses_dynamic_stack 0
		.amdhsa_enable_private_segment 0
		.amdhsa_system_sgpr_workgroup_id_x 1
		.amdhsa_system_sgpr_workgroup_id_y 0
		.amdhsa_system_sgpr_workgroup_id_z 0
		.amdhsa_system_sgpr_workgroup_info 0
		.amdhsa_system_vgpr_workitem_id 0
		.amdhsa_next_free_vgpr 84
		.amdhsa_next_free_sgpr 16
		.amdhsa_reserve_vcc 1
		.amdhsa_float_round_mode_32 0
		.amdhsa_float_round_mode_16_64 0
		.amdhsa_float_denorm_mode_32 3
		.amdhsa_float_denorm_mode_16_64 3
		.amdhsa_fp16_overflow 0
		.amdhsa_workgroup_processor_mode 1
		.amdhsa_memory_ordered 1
		.amdhsa_forward_progress 0
		.amdhsa_round_robin_scheduling 0
		.amdhsa_exception_fp_ieee_invalid_op 0
		.amdhsa_exception_fp_denorm_src 0
		.amdhsa_exception_fp_ieee_div_zero 0
		.amdhsa_exception_fp_ieee_overflow 0
		.amdhsa_exception_fp_ieee_underflow 0
		.amdhsa_exception_fp_ieee_inexact 0
		.amdhsa_exception_int_div_zero 0
	.end_amdhsa_kernel
	.text
.Lfunc_end0:
	.size	bluestein_single_back_len441_dim1_sp_op_CI_CI, .Lfunc_end0-bluestein_single_back_len441_dim1_sp_op_CI_CI
                                        ; -- End function
	.section	.AMDGPU.csdata,"",@progbits
; Kernel info:
; codeLenInByte = 7588
; NumSgprs: 18
; NumVgprs: 84
; ScratchSize: 0
; MemoryBound: 0
; FloatMode: 240
; IeeeMode: 1
; LDSByteSize: 3528 bytes/workgroup (compile time only)
; SGPRBlocks: 2
; VGPRBlocks: 10
; NumSGPRsForWavesPerEU: 18
; NumVGPRsForWavesPerEU: 84
; Occupancy: 16
; WaveLimiterHint : 1
; COMPUTE_PGM_RSRC2:SCRATCH_EN: 0
; COMPUTE_PGM_RSRC2:USER_SGPR: 2
; COMPUTE_PGM_RSRC2:TRAP_HANDLER: 0
; COMPUTE_PGM_RSRC2:TGID_X_EN: 1
; COMPUTE_PGM_RSRC2:TGID_Y_EN: 0
; COMPUTE_PGM_RSRC2:TGID_Z_EN: 0
; COMPUTE_PGM_RSRC2:TIDIG_COMP_CNT: 0
	.text
	.p2alignl 7, 3214868480
	.fill 96, 4, 3214868480
	.type	__hip_cuid_58e0613647f72d20,@object ; @__hip_cuid_58e0613647f72d20
	.section	.bss,"aw",@nobits
	.globl	__hip_cuid_58e0613647f72d20
__hip_cuid_58e0613647f72d20:
	.byte	0                               ; 0x0
	.size	__hip_cuid_58e0613647f72d20, 1

	.ident	"AMD clang version 19.0.0git (https://github.com/RadeonOpenCompute/llvm-project roc-6.4.0 25133 c7fe45cf4b819c5991fe208aaa96edf142730f1d)"
	.section	".note.GNU-stack","",@progbits
	.addrsig
	.addrsig_sym __hip_cuid_58e0613647f72d20
	.amdgpu_metadata
---
amdhsa.kernels:
  - .args:
      - .actual_access:  read_only
        .address_space:  global
        .offset:         0
        .size:           8
        .value_kind:     global_buffer
      - .actual_access:  read_only
        .address_space:  global
        .offset:         8
        .size:           8
        .value_kind:     global_buffer
      - .actual_access:  read_only
        .address_space:  global
        .offset:         16
        .size:           8
        .value_kind:     global_buffer
      - .actual_access:  read_only
        .address_space:  global
        .offset:         24
        .size:           8
        .value_kind:     global_buffer
      - .actual_access:  read_only
        .address_space:  global
        .offset:         32
        .size:           8
        .value_kind:     global_buffer
      - .offset:         40
        .size:           8
        .value_kind:     by_value
      - .address_space:  global
        .offset:         48
        .size:           8
        .value_kind:     global_buffer
      - .address_space:  global
        .offset:         56
        .size:           8
        .value_kind:     global_buffer
      - .address_space:  global
        .offset:         64
        .size:           8
        .value_kind:     global_buffer
      - .address_space:  global
        .offset:         72
        .size:           8
        .value_kind:     global_buffer
      - .offset:         80
        .size:           4
        .value_kind:     by_value
      - .address_space:  global
        .offset:         88
        .size:           8
        .value_kind:     global_buffer
      - .address_space:  global
        .offset:         96
        .size:           8
        .value_kind:     global_buffer
    .group_segment_fixed_size: 3528
    .kernarg_segment_align: 8
    .kernarg_segment_size: 104
    .language:       OpenCL C
    .language_version:
      - 2
      - 0
    .max_flat_workgroup_size: 63
    .name:           bluestein_single_back_len441_dim1_sp_op_CI_CI
    .private_segment_fixed_size: 0
    .sgpr_count:     18
    .sgpr_spill_count: 0
    .symbol:         bluestein_single_back_len441_dim1_sp_op_CI_CI.kd
    .uniform_work_group_size: 1
    .uses_dynamic_stack: false
    .vgpr_count:     84
    .vgpr_spill_count: 0
    .wavefront_size: 32
    .workgroup_processor_mode: 1
amdhsa.target:   amdgcn-amd-amdhsa--gfx1201
amdhsa.version:
  - 1
  - 2
...

	.end_amdgpu_metadata
